;; amdgpu-corpus repo=ROCm/rocFFT kind=compiled arch=gfx1201 opt=O3
	.text
	.amdgcn_target "amdgcn-amd-amdhsa--gfx1201"
	.amdhsa_code_object_version 6
	.protected	bluestein_single_fwd_len294_dim1_sp_op_CI_CI ; -- Begin function bluestein_single_fwd_len294_dim1_sp_op_CI_CI
	.globl	bluestein_single_fwd_len294_dim1_sp_op_CI_CI
	.p2align	8
	.type	bluestein_single_fwd_len294_dim1_sp_op_CI_CI,@function
bluestein_single_fwd_len294_dim1_sp_op_CI_CI: ; @bluestein_single_fwd_len294_dim1_sp_op_CI_CI
; %bb.0:
	s_load_b128 s[12:15], s[0:1], 0x28
	v_mul_u32_u24_e32 v1, 0x619, v0
	s_mov_b32 s2, exec_lo
	s_delay_alu instid0(VALU_DEP_1) | instskip(NEXT) | instid1(VALU_DEP_1)
	v_lshrrev_b32_e32 v1, 16, v1
	v_mad_co_u64_u32 v[50:51], null, ttmp9, 3, v[1:2]
	v_mov_b32_e32 v51, 0
	s_wait_kmcnt 0x0
	s_delay_alu instid0(VALU_DEP_1)
	v_cmpx_gt_u64_e64 s[12:13], v[50:51]
	s_cbranch_execz .LBB0_15
; %bb.1:
	s_clause 0x1
	s_load_b128 s[4:7], s[0:1], 0x18
	s_load_b64 s[12:13], s[0:1], 0x0
	v_mul_lo_u16 v1, v1, 42
	v_mul_hi_u32 v14, 0xaaaaaaab, v50
	s_delay_alu instid0(VALU_DEP_2) | instskip(NEXT) | instid1(VALU_DEP_2)
	v_sub_nc_u16 v18, v0, v1
	v_lshrrev_b32_e32 v14, 1, v14
	s_delay_alu instid0(VALU_DEP_2) | instskip(NEXT) | instid1(VALU_DEP_2)
	v_and_b32_e32 v64, 0xffff, v18
	v_lshl_add_u32 v14, v14, 1, v14
	s_wait_kmcnt 0x0
	s_load_b128 s[8:11], s[4:5], 0x0
	s_delay_alu instid0(VALU_DEP_1) | instskip(NEXT) | instid1(VALU_DEP_1)
	v_sub_nc_u32_e32 v14, v50, v14
	v_mul_u32_u24_e32 v14, 0x126, v14
	s_wait_kmcnt 0x0
	v_mad_co_u64_u32 v[0:1], null, s10, v50, 0
	v_mad_co_u64_u32 v[2:3], null, s8, v64, 0
	s_mul_u64 s[2:3], s[8:9], 49
	s_delay_alu instid0(VALU_DEP_1) | instskip(NEXT) | instid1(VALU_DEP_1)
	v_mad_co_u64_u32 v[4:5], null, s11, v50, v[1:2]
	v_mov_b32_e32 v1, v4
	s_delay_alu instid0(VALU_DEP_3) | instskip(SKIP_1) | instid1(VALU_DEP_3)
	v_mad_co_u64_u32 v[5:6], null, s9, v64, v[3:4]
	v_lshlrev_b32_e32 v36, 3, v64
	v_lshlrev_b64_e32 v[0:1], 3, v[0:1]
	s_delay_alu instid0(VALU_DEP_3) | instskip(NEXT) | instid1(VALU_DEP_2)
	v_mov_b32_e32 v3, v5
	v_add_co_u32 v0, vcc_lo, s14, v0
	s_delay_alu instid0(VALU_DEP_3) | instskip(NEXT) | instid1(VALU_DEP_3)
	v_add_co_ci_u32_e32 v1, vcc_lo, s15, v1, vcc_lo
	v_lshlrev_b64_e32 v[2:3], 3, v[2:3]
	s_lshl_b64 s[14:15], s[2:3], 3
	v_add_co_u32 v48, s2, s12, v36
	s_delay_alu instid0(VALU_DEP_1) | instskip(NEXT) | instid1(VALU_DEP_3)
	v_add_co_ci_u32_e64 v49, null, s13, 0, s2
	v_add_co_u32 v0, vcc_lo, v0, v2
	s_wait_alu 0xfffd
	v_add_co_ci_u32_e32 v1, vcc_lo, v1, v3, vcc_lo
	s_wait_alu 0xfffe
	s_delay_alu instid0(VALU_DEP_2) | instskip(SKIP_1) | instid1(VALU_DEP_2)
	v_add_co_u32 v2, vcc_lo, v0, s14
	s_wait_alu 0xfffd
	v_add_co_ci_u32_e32 v3, vcc_lo, s15, v1, vcc_lo
	global_load_b64 v[4:5], v[0:1], off
	v_add_co_u32 v0, vcc_lo, v2, s14
	s_wait_alu 0xfffd
	v_add_co_ci_u32_e32 v1, vcc_lo, s15, v3, vcc_lo
	s_clause 0x3
	global_load_b64 v[61:62], v36, s[12:13]
	global_load_b64 v[53:54], v36, s[12:13] offset:392
	global_load_b64 v[55:56], v36, s[12:13] offset:784
	;; [unrolled: 1-line block ×3, first 2 shown]
	v_add_co_u32 v6, vcc_lo, v0, s14
	s_wait_alu 0xfffd
	v_add_co_ci_u32_e32 v7, vcc_lo, s15, v1, vcc_lo
	s_clause 0x1
	global_load_b64 v[2:3], v[2:3], off
	global_load_b64 v[8:9], v[0:1], off
	v_add_co_u32 v10, vcc_lo, v6, s14
	s_wait_alu 0xfffd
	v_add_co_ci_u32_e32 v11, vcc_lo, s15, v7, vcc_lo
	global_load_b64 v[6:7], v[6:7], off
	v_add_co_u32 v0, vcc_lo, v10, s14
	s_wait_alu 0xfffd
	v_add_co_ci_u32_e32 v1, vcc_lo, s15, v11, vcc_lo
	global_load_b64 v[10:11], v[10:11], off
	s_clause 0x1
	global_load_b64 v[57:58], v36, s[12:13] offset:1568
	global_load_b64 v[59:60], v36, s[12:13] offset:1960
	global_load_b64 v[12:13], v[0:1], off
	v_lshlrev_b32_e32 v65, 3, v14
	s_load_b64 s[10:11], s[0:1], 0x38
	s_load_b128 s[4:7], s[6:7], 0x0
	v_cmp_gt_u16_e32 vcc_lo, 7, v18
	s_wait_loadcnt 0xa
	v_mul_f32_e32 v14, v5, v62
	v_mul_f32_e32 v15, v4, v62
	s_delay_alu instid0(VALU_DEP_2)
	v_fmac_f32_e32 v14, v4, v61
	s_wait_loadcnt 0x6
	v_dual_mul_f32 v4, v3, v54 :: v_dual_add_nc_u32 v63, v36, v65
	s_wait_loadcnt 0x5
	v_mul_f32_e32 v17, v8, v56
	v_mul_f32_e32 v16, v9, v56
	v_fma_f32 v15, v5, v61, -v15
	v_mul_f32_e32 v5, v2, v54
	v_fmac_f32_e32 v4, v2, v53
	s_wait_loadcnt 0x4
	v_mul_f32_e32 v2, v7, v52
	v_fmac_f32_e32 v16, v8, v55
	v_fma_f32 v17, v9, v55, -v17
	v_fma_f32 v5, v3, v53, -v5
	v_mul_f32_e32 v3, v6, v52
	v_fmac_f32_e32 v2, v6, v51
	s_wait_loadcnt 0x2
	v_mul_f32_e32 v6, v11, v58
	s_wait_loadcnt 0x0
	v_dual_mul_f32 v9, v10, v58 :: v_dual_mul_f32 v8, v13, v60
	v_mul_f32_e32 v19, v12, v60
	v_fma_f32 v3, v7, v51, -v3
	v_fmac_f32_e32 v6, v10, v57
	s_delay_alu instid0(VALU_DEP_4)
	v_fma_f32 v7, v11, v57, -v9
	v_fmac_f32_e32 v8, v12, v59
	v_fma_f32 v9, v13, v59, -v19
	ds_store_2addr_b64 v63, v[14:15], v[4:5] offset1:49
	ds_store_2addr_b64 v63, v[16:17], v[2:3] offset0:98 offset1:147
	ds_store_2addr_b64 v63, v[6:7], v[8:9] offset0:196 offset1:245
	s_and_saveexec_b32 s3, vcc_lo
	s_cbranch_execz .LBB0_3
; %bb.2:
	v_mad_co_u64_u32 v[0:1], null, 0xfffff9a8, s8, v[0:1]
	s_mul_i32 s2, s9, 0xfffff9a8
	s_clause 0x3
	global_load_b64 v[2:3], v[48:49], off offset:336
	global_load_b64 v[4:5], v[48:49], off offset:728
	;; [unrolled: 1-line block ×4, first 2 shown]
	s_wait_alu 0xfffe
	s_sub_co_i32 s2, s2, s8
	s_wait_alu 0xfffe
	v_add_nc_u32_e32 v1, s2, v1
	v_add_co_u32 v10, s2, v0, s14
	s_wait_alu 0xf1ff
	s_delay_alu instid0(VALU_DEP_2) | instskip(NEXT) | instid1(VALU_DEP_2)
	v_add_co_ci_u32_e64 v11, s2, s15, v1, s2
	v_add_co_u32 v12, s2, v10, s14
	global_load_b64 v[0:1], v[0:1], off
	s_wait_alu 0xf1ff
	v_add_co_ci_u32_e64 v13, s2, s15, v11, s2
	v_add_co_u32 v14, s2, v12, s14
	global_load_b64 v[10:11], v[10:11], off
	s_wait_alu 0xf1ff
	;; [unrolled: 4-line block ×4, first 2 shown]
	v_add_co_ci_u32_e64 v19, s2, s15, v17, s2
	global_load_b64 v[16:17], v[16:17], off
	s_clause 0x1
	global_load_b64 v[20:21], v[48:49], off offset:1904
	global_load_b64 v[22:23], v[48:49], off offset:2296
	global_load_b64 v[18:19], v[18:19], off
	s_wait_loadcnt 0x7
	v_mul_f32_e32 v24, v1, v3
	v_mul_f32_e32 v3, v0, v3
	s_delay_alu instid0(VALU_DEP_1) | instskip(SKIP_1) | instid1(VALU_DEP_3)
	v_fma_f32 v25, v1, v2, -v3
	s_wait_loadcnt 0x6
	v_dual_mul_f32 v1, v10, v5 :: v_dual_fmac_f32 v24, v0, v2
	v_mul_f32_e32 v0, v11, v5
	s_wait_loadcnt 0x5
	v_mul_f32_e32 v2, v13, v7
	v_mul_f32_e32 v3, v12, v7
	v_fma_f32 v1, v11, v4, -v1
	s_wait_loadcnt 0x4
	v_dual_fmac_f32 v0, v10, v4 :: v_dual_mul_f32 v5, v15, v9
	v_mul_f32_e32 v4, v14, v9
	s_wait_loadcnt 0x2
	v_mul_f32_e32 v7, v17, v21
	s_wait_loadcnt 0x0
	v_dual_mul_f32 v10, v16, v21 :: v_dual_mul_f32 v11, v18, v23
	v_dual_mul_f32 v9, v19, v23 :: v_dual_fmac_f32 v2, v12, v6
	v_fmac_f32_e32 v5, v14, v8
	v_fma_f32 v3, v13, v6, -v3
	v_fma_f32 v6, v15, v8, -v4
	;; [unrolled: 1-line block ×3, first 2 shown]
	v_fmac_f32_e32 v9, v18, v22
	v_fma_f32 v10, v19, v22, -v11
	v_dual_fmac_f32 v7, v16, v20 :: v_dual_add_nc_u32 v4, 0x400, v63
	ds_store_2addr_b64 v63, v[24:25], v[0:1] offset0:42 offset1:91
	ds_store_2addr_b64 v63, v[2:3], v[5:6] offset0:140 offset1:189
	;; [unrolled: 1-line block ×3, first 2 shown]
.LBB0_3:
	s_wait_alu 0xfffe
	s_or_b32 exec_lo, exec_lo, s3
	global_wb scope:SCOPE_SE
	s_wait_dscnt 0x0
	s_wait_kmcnt 0x0
	s_barrier_signal -1
	s_barrier_wait -1
	global_inv scope:SCOPE_SE
	ds_load_2addr_b64 v[12:15], v63 offset1:49
	ds_load_2addr_b64 v[20:23], v63 offset0:98 offset1:147
	ds_load_2addr_b64 v[16:19], v63 offset0:196 offset1:245
	s_load_b64 s[0:1], s[0:1], 0x8
                                        ; implicit-def: $vgpr0
                                        ; implicit-def: $vgpr8
                                        ; implicit-def: $vgpr4
	s_and_saveexec_b32 s2, vcc_lo
	s_cbranch_execz .LBB0_5
; %bb.4:
	v_add_nc_u32_e32 v4, 0x400, v63
	ds_load_2addr_b64 v[0:3], v63 offset0:42 offset1:91
	ds_load_2addr_b64 v[8:11], v63 offset0:140 offset1:189
	;; [unrolled: 1-line block ×3, first 2 shown]
.LBB0_5:
	s_wait_alu 0xfffe
	s_or_b32 exec_lo, exec_lo, s2
	s_wait_dscnt 0x0
	v_dual_add_f32 v24, v20, v16 :: v_dual_add_f32 v27, v22, v18
	v_dual_add_f32 v25, v12, v20 :: v_dual_sub_f32 v26, v21, v17
	v_add_co_u32 v33, null, v64, 42
	s_delay_alu instid0(VALU_DEP_3) | instskip(SKIP_1) | instid1(VALU_DEP_4)
	v_fma_f32 v12, -0.5, v24, v12
	v_add_f32_e32 v24, v21, v17
	v_add_f32_e32 v31, v25, v16
	v_sub_f32_e32 v25, v23, v19
	s_delay_alu instid0(VALU_DEP_4) | instskip(SKIP_2) | instid1(VALU_DEP_3)
	v_dual_add_f32 v21, v13, v21 :: v_dual_fmamk_f32 v32, v26, 0x3f5db3d7, v12
	v_fmac_f32_e32 v12, 0xbf5db3d7, v26
	v_fma_f32 v13, -0.5, v24, v13
	v_dual_add_f32 v24, v23, v19 :: v_dual_add_f32 v17, v21, v17
	v_dual_sub_f32 v16, v20, v16 :: v_dual_add_f32 v23, v15, v23
	v_fma_f32 v20, -0.5, v27, v14
	s_delay_alu instid0(VALU_DEP_3) | instskip(NEXT) | instid1(VALU_DEP_3)
	v_dual_fmac_f32 v15, -0.5, v24 :: v_dual_sub_f32 v24, v22, v18
	v_dual_fmamk_f32 v21, v16, 0xbf5db3d7, v13 :: v_dual_add_f32 v14, v14, v22
	s_delay_alu instid0(VALU_DEP_3) | instskip(NEXT) | instid1(VALU_DEP_3)
	v_dual_fmamk_f32 v22, v25, 0x3f5db3d7, v20 :: v_dual_fmac_f32 v13, 0x3f5db3d7, v16
	v_dual_fmamk_f32 v26, v24, 0xbf5db3d7, v15 :: v_dual_add_f32 v19, v23, v19
	s_delay_alu instid0(VALU_DEP_2) | instskip(NEXT) | instid1(VALU_DEP_4)
	v_dual_fmac_f32 v20, 0xbf5db3d7, v25 :: v_dual_mul_f32 v23, 0xbf5db3d7, v22
	v_dual_add_f32 v14, v14, v18 :: v_dual_fmac_f32 v15, 0x3f5db3d7, v24
	s_delay_alu instid0(VALU_DEP_3) | instskip(NEXT) | instid1(VALU_DEP_3)
	v_mul_f32_e32 v16, 0x3f5db3d7, v26
	v_dual_mul_f32 v18, -0.5, v20 :: v_dual_fmac_f32 v23, 0.5, v26
	s_delay_alu instid0(VALU_DEP_3) | instskip(SKIP_1) | instid1(VALU_DEP_3)
	v_dual_add_f32 v25, v31, v14 :: v_dual_mul_f32 v24, -0.5, v15
	v_dual_add_f32 v26, v17, v19 :: v_dual_sub_f32 v31, v31, v14
	v_dual_fmac_f32 v18, 0x3f5db3d7, v15 :: v_dual_add_f32 v15, v8, v4
	v_fmac_f32_e32 v16, 0.5, v22
	v_sub_f32_e32 v14, v9, v5
	v_add_f32_e32 v28, v21, v23
	v_mul_u32_u24_e32 v66, 6, v33
	global_wb scope:SCOPE_SE
	v_sub_f32_e32 v37, v32, v16
	v_add_f32_e32 v27, v32, v16
	v_dual_fmac_f32 v24, 0xbf5db3d7, v20 :: v_dual_add_f32 v29, v12, v18
	v_sub_f32_e32 v39, v12, v18
	v_add_f32_e32 v12, v0, v8
	v_fmac_f32_e32 v0, -0.5, v15
	s_delay_alu instid0(VALU_DEP_4)
	v_add_f32_e32 v30, v13, v24
	v_dual_sub_f32 v40, v13, v24 :: v_dual_add_f32 v13, v10, v6
	v_add_f32_e32 v15, v11, v7
	v_sub_f32_e32 v32, v17, v19
	v_dual_add_f32 v16, v12, v4 :: v_dual_add_f32 v17, v2, v10
	v_fmamk_f32 v12, v14, 0x3f5db3d7, v0
	v_fmac_f32_e32 v0, 0xbf5db3d7, v14
	v_sub_f32_e32 v8, v8, v4
	v_dual_fmac_f32 v2, -0.5, v13 :: v_dual_sub_f32 v13, v11, v7
	v_add_f32_e32 v11, v3, v11
	v_dual_fmac_f32 v3, -0.5, v15 :: v_dual_sub_f32 v10, v10, v6
	v_add_f32_e32 v14, v1, v9
	v_add_f32_e32 v9, v9, v5
	v_mul_u32_u24_e32 v24, 6, v64
	s_wait_kmcnt 0x0
	s_barrier_signal -1
	s_barrier_wait -1
	global_inv scope:SCOPE_SE
	v_fmac_f32_e32 v1, -0.5, v9
	v_fmamk_f32 v9, v13, 0x3f5db3d7, v2
	v_fmac_f32_e32 v2, 0xbf5db3d7, v13
	v_lshl_add_u32 v68, v24, 3, v65
	s_delay_alu instid0(VALU_DEP_3) | instskip(SKIP_4) | instid1(VALU_DEP_4)
	v_mul_f32_e32 v15, 0xbf5db3d7, v9
	v_dual_add_f32 v4, v14, v5 :: v_dual_add_f32 v5, v17, v6
	v_dual_sub_f32 v38, v21, v23 :: v_dual_fmamk_f32 v13, v8, 0xbf5db3d7, v1
	v_fmamk_f32 v14, v10, 0xbf5db3d7, v3
	v_fmac_f32_e32 v3, 0x3f5db3d7, v10
	v_dual_fmac_f32 v1, 0x3f5db3d7, v8 :: v_dual_sub_f32 v22, v16, v5
	ds_store_b128 v68, v[25:28]
	ds_store_b128 v68, v[29:32] offset:16
	ds_store_b128 v68, v[37:40] offset:32
	v_dual_fmac_f32 v15, 0.5, v14 :: v_dual_mul_f32 v34, -0.5, v3
	s_delay_alu instid0(VALU_DEP_1) | instskip(SKIP_1) | instid1(VALU_DEP_2)
	v_dual_add_f32 v19, v13, v15 :: v_dual_fmac_f32 v34, 0xbf5db3d7, v2
	v_dual_mul_f32 v8, 0x3f5db3d7, v14 :: v_dual_sub_f32 v13, v13, v15
	v_add_f32_e32 v21, v1, v34
	v_mul_f32_e32 v10, -0.5, v2
	s_delay_alu instid0(VALU_DEP_3) | instskip(SKIP_1) | instid1(VALU_DEP_3)
	v_dual_fmac_f32 v8, 0.5, v9 :: v_dual_sub_f32 v15, v1, v34
	v_add_f32_e32 v2, v11, v7
	v_fmac_f32_e32 v10, 0x3f5db3d7, v3
	s_delay_alu instid0(VALU_DEP_3) | instskip(SKIP_1) | instid1(VALU_DEP_4)
	v_add_f32_e32 v18, v12, v8
	v_sub_f32_e32 v12, v12, v8
	v_sub_f32_e32 v23, v4, v2
	s_delay_alu instid0(VALU_DEP_4)
	v_add_f32_e32 v20, v0, v10
	v_sub_f32_e32 v14, v0, v10
	s_and_saveexec_b32 s2, vcc_lo
	s_cbranch_execz .LBB0_7
; %bb.6:
	v_add_f32_e32 v17, v4, v2
	v_add_f32_e32 v16, v16, v5
	v_lshl_add_u32 v0, v66, 3, v65
	ds_store_b128 v0, v[16:19]
	ds_store_b128 v0, v[20:23] offset:16
	ds_store_b128 v0, v[12:15] offset:32
.LBB0_7:
	s_wait_alu 0xfffe
	s_or_b32 exec_lo, exec_lo, s2
	v_and_b32_e32 v0, 0xff, v64
	global_wb scope:SCOPE_SE
	s_wait_dscnt 0x0
	s_barrier_signal -1
	s_barrier_wait -1
	global_inv scope:SCOPE_SE
	v_mul_lo_u16 v0, 0xab, v0
	s_delay_alu instid0(VALU_DEP_1) | instskip(NEXT) | instid1(VALU_DEP_1)
	v_lshrrev_b16 v16, 10, v0
	v_mul_lo_u16 v0, v16, 6
	s_delay_alu instid0(VALU_DEP_1) | instskip(NEXT) | instid1(VALU_DEP_1)
	v_sub_nc_u16 v0, v64, v0
	v_and_b32_e32 v33, 0xff, v0
	s_delay_alu instid0(VALU_DEP_1) | instskip(NEXT) | instid1(VALU_DEP_1)
	v_mul_u32_u24_e32 v0, 6, v33
	v_lshlrev_b32_e32 v0, 3, v0
	s_clause 0x2
	global_load_b128 v[8:11], v0, s[0:1]
	global_load_b128 v[4:7], v0, s[0:1] offset:16
	global_load_b128 v[0:3], v0, s[0:1] offset:32
	ds_load_2addr_b64 v[25:28], v63 offset1:42
	ds_load_2addr_b64 v[29:32], v63 offset0:84 offset1:126
	ds_load_2addr_b64 v[37:40], v63 offset0:168 offset1:210
	v_and_b32_e32 v16, 0xffff, v16
	s_wait_loadcnt_dscnt 0x202
	v_dual_mul_f32 v24, v28, v9 :: v_dual_lshlrev_b32 v41, 3, v24
	s_wait_loadcnt_dscnt 0x101
	v_mul_f32_e32 v43, v31, v5
	v_mul_u32_u24_e32 v34, 42, v16
	ds_load_b64 v[16:17], v63 offset:2016
	v_dual_mul_f32 v35, v29, v11 :: v_dual_mul_f32 v42, v32, v5
	s_wait_dscnt 0x1
	v_mul_f32_e32 v45, v37, v7
	v_add_nc_u32_e32 v33, v34, v33
	v_mul_f32_e32 v34, v30, v11
	s_wait_loadcnt 0x0
	v_dual_mul_f32 v44, v38, v7 :: v_dual_mul_f32 v47, v39, v1
	v_mul_f32_e32 v46, v40, v1
	v_fma_f32 v24, v27, v8, -v24
	global_wb scope:SCOPE_SE
	s_wait_dscnt 0x0
	s_barrier_signal -1
	s_barrier_wait -1
	global_inv scope:SCOPE_SE
	v_mul_f32_e32 v69, v17, v3
	v_mul_f32_e32 v70, v16, v3
	v_lshl_add_u32 v67, v33, 3, v65
	v_mul_f32_e32 v33, v27, v9
	v_fma_f32 v27, v29, v10, -v34
	v_fma_f32 v29, v37, v6, -v44
	;; [unrolled: 1-line block ×3, first 2 shown]
	v_fmac_f32_e32 v35, v30, v10
	v_dual_fmac_f32 v33, v28, v8 :: v_dual_fmac_f32 v70, v17, v2
	v_fma_f32 v28, v31, v4, -v42
	v_fma_f32 v17, v39, v0, -v46
	v_fmac_f32_e32 v47, v40, v0
	v_fmac_f32_e32 v43, v32, v4
	v_dual_fmac_f32 v45, v38, v6 :: v_dual_add_f32 v30, v24, v16
	v_dual_sub_f32 v16, v24, v16 :: v_dual_add_f32 v31, v33, v70
	v_add_f32_e32 v34, v28, v29
	v_sub_f32_e32 v24, v33, v70
	v_add_f32_e32 v32, v27, v17
	v_dual_add_f32 v33, v35, v47 :: v_dual_sub_f32 v28, v29, v28
	v_sub_f32_e32 v17, v27, v17
	v_sub_f32_e32 v27, v35, v47
	s_delay_alu instid0(VALU_DEP_3) | instskip(SKIP_3) | instid1(VALU_DEP_4)
	v_dual_add_f32 v35, v43, v45 :: v_dual_sub_f32 v40, v33, v31
	v_sub_f32_e32 v29, v45, v43
	v_dual_add_f32 v38, v33, v31 :: v_dual_add_f32 v37, v32, v30
	v_dual_sub_f32 v46, v17, v16 :: v_dual_sub_f32 v39, v32, v30
	v_dual_sub_f32 v30, v30, v34 :: v_dual_sub_f32 v31, v31, v35
	v_add_f32_e32 v42, v28, v17
	v_dual_sub_f32 v32, v34, v32 :: v_dual_add_f32 v43, v29, v27
	v_dual_sub_f32 v44, v28, v17 :: v_dual_sub_f32 v45, v29, v27
	s_delay_alu instid0(VALU_DEP_4)
	v_dual_sub_f32 v29, v24, v29 :: v_dual_mul_f32 v30, 0x3f4a47b2, v30
	v_add_f32_e32 v34, v34, v37
	v_dual_sub_f32 v33, v35, v33 :: v_dual_sub_f32 v28, v16, v28
	v_sub_f32_e32 v27, v27, v24
	v_dual_add_f32 v35, v35, v38 :: v_dual_mul_f32 v38, 0x3d64c772, v32
	v_add_f32_e32 v24, v43, v24
	v_add_f32_e32 v37, v42, v16
	v_dual_mul_f32 v31, 0x3f4a47b2, v31 :: v_dual_add_f32 v16, v25, v34
	v_fmamk_f32 v25, v32, 0x3d64c772, v30
	v_dual_mul_f32 v43, 0xbf08b237, v44 :: v_dual_mul_f32 v44, 0xbf08b237, v45
	v_mul_f32_e32 v42, 0x3d64c772, v33
	v_fma_f32 v32, 0x3f3bfb3b, v39, -v38
	v_fma_f32 v30, 0xbf3bfb3b, v39, -v30
	v_dual_add_f32 v17, v26, v35 :: v_dual_fmamk_f32 v26, v33, 0x3d64c772, v31
	v_fmamk_f32 v39, v29, 0x3eae86e6, v44
	v_fma_f32 v33, 0x3f3bfb3b, v40, -v42
	v_fma_f32 v42, 0x3f5ff5aa, v27, -v44
	;; [unrolled: 1-line block ×3, first 2 shown]
	s_delay_alu instid0(VALU_DEP_4) | instskip(SKIP_3) | instid1(VALU_DEP_3)
	v_fmac_f32_e32 v39, 0x3ee1c552, v24
	v_mul_f32_e32 v47, 0x3f5ff5aa, v27
	v_fmamk_f32 v27, v34, 0xbf955555, v16
	v_mul_f32_e32 v45, 0x3f5ff5aa, v46
	v_fma_f32 v44, 0xbeae86e6, v29, -v47
	s_delay_alu instid0(VALU_DEP_3)
	v_add_f32_e32 v32, v32, v27
	v_add_f32_e32 v34, v25, v27
	v_fmamk_f32 v38, v28, 0x3eae86e6, v43
	v_fma_f32 v40, 0x3f5ff5aa, v46, -v43
	v_fma_f32 v43, 0xbeae86e6, v28, -v45
	v_fmamk_f32 v28, v35, 0xbf955555, v17
	v_fmac_f32_e32 v42, 0x3ee1c552, v24
	s_delay_alu instid0(VALU_DEP_4) | instskip(NEXT) | instid1(VALU_DEP_4)
	v_fmac_f32_e32 v40, 0x3ee1c552, v37
	v_fmac_f32_e32 v43, 0x3ee1c552, v37
	s_delay_alu instid0(VALU_DEP_4) | instskip(SKIP_3) | instid1(VALU_DEP_4)
	v_dual_add_f32 v35, v26, v28 :: v_dual_fmac_f32 v38, 0x3ee1c552, v37
	v_dual_add_f32 v37, v30, v27 :: v_dual_fmac_f32 v44, 0x3ee1c552, v24
	v_add_f32_e32 v45, v31, v28
	v_dual_add_f32 v31, v33, v28 :: v_dual_add_f32 v24, v39, v34
	v_dual_sub_f32 v34, v34, v39 :: v_dual_sub_f32 v25, v35, v38
	s_delay_alu instid0(VALU_DEP_4) | instskip(NEXT) | instid1(VALU_DEP_4)
	v_add_f32_e32 v26, v44, v37
	v_dual_sub_f32 v28, v32, v42 :: v_dual_sub_f32 v27, v45, v43
	s_delay_alu instid0(VALU_DEP_4)
	v_dual_add_f32 v29, v40, v31 :: v_dual_add_f32 v30, v42, v32
	v_sub_f32_e32 v32, v37, v44
	v_sub_f32_e32 v31, v31, v40
	v_add_f32_e32 v33, v43, v45
	v_add_f32_e32 v35, v38, v35
	ds_store_2addr_b64 v67, v[16:17], v[24:25] offset1:6
	ds_store_2addr_b64 v67, v[26:27], v[28:29] offset0:12 offset1:18
	ds_store_2addr_b64 v67, v[30:31], v[32:33] offset0:24 offset1:30
	ds_store_b64 v67, v[34:35] offset:288
	global_wb scope:SCOPE_SE
	s_wait_dscnt 0x0
	s_barrier_signal -1
	s_barrier_wait -1
	global_inv scope:SCOPE_SE
	s_clause 0x2
	global_load_b128 v[32:35], v41, s[0:1] offset:288
	global_load_b128 v[28:31], v41, s[0:1] offset:304
	;; [unrolled: 1-line block ×3, first 2 shown]
	ds_load_2addr_b64 v[37:40], v63 offset1:42
	ds_load_2addr_b64 v[41:44], v63 offset0:84 offset1:126
	ds_load_2addr_b64 v[69:72], v63 offset0:168 offset1:210
	ds_load_b64 v[16:17], v63 offset:2016
	s_add_nc_u64 s[0:1], s[12:13], 0x930
	s_wait_loadcnt_dscnt 0x202
	v_dual_mul_f32 v46, v39, v33 :: v_dual_mul_f32 v47, v42, v35
	s_wait_loadcnt_dscnt 0x1
	v_mul_f32_e32 v78, v72, v25
	s_wait_dscnt 0x0
	v_mul_f32_e32 v81, v16, v27
	v_dual_mul_f32 v45, v40, v33 :: v_dual_mul_f32 v80, v17, v27
	v_dual_mul_f32 v79, v71, v25 :: v_dual_fmac_f32 v46, v40, v32
	v_fma_f32 v40, v41, v34, -v47
	s_delay_alu instid0(VALU_DEP_4)
	v_fmac_f32_e32 v81, v17, v26
	v_fma_f32 v17, v71, v24, -v78
	v_dual_mul_f32 v73, v41, v35 :: v_dual_mul_f32 v74, v44, v29
	v_mul_f32_e32 v76, v70, v31
	v_fma_f32 v39, v39, v32, -v45
	v_fma_f32 v16, v16, v26, -v80
	v_add_f32_e32 v45, v40, v17
	v_sub_f32_e32 v17, v40, v17
	v_fmac_f32_e32 v79, v72, v24
	v_mul_f32_e32 v75, v43, v29
	v_fma_f32 v41, v43, v28, -v74
	v_add_f32_e32 v43, v39, v16
	v_dual_mul_f32 v77, v69, v31 :: v_dual_sub_f32 v16, v39, v16
	s_delay_alu instid0(VALU_DEP_4) | instskip(SKIP_3) | instid1(VALU_DEP_2)
	v_dual_fmac_f32 v75, v44, v28 :: v_dual_add_f32 v44, v46, v81
	v_fmac_f32_e32 v73, v42, v34
	v_fma_f32 v42, v69, v30, -v76
	v_sub_f32_e32 v39, v46, v81
	v_add_f32_e32 v47, v41, v42
	v_sub_f32_e32 v41, v42, v41
	s_delay_alu instid0(VALU_DEP_1)
	v_dual_sub_f32 v76, v41, v17 :: v_dual_fmac_f32 v77, v70, v30
	v_sub_f32_e32 v72, v45, v43
	v_add_f32_e32 v70, v45, v43
	v_add_f32_e32 v74, v41, v17
	;; [unrolled: 1-line block ×3, first 2 shown]
	v_dual_sub_f32 v40, v73, v79 :: v_dual_add_f32 v69, v75, v77
	v_dual_sub_f32 v42, v77, v75 :: v_dual_sub_f32 v41, v16, v41
	s_delay_alu instid0(VALU_DEP_3)
	v_add_f32_e32 v71, v46, v44
	v_sub_f32_e32 v17, v17, v16
	v_sub_f32_e32 v73, v46, v44
	v_add_f32_e32 v16, v74, v16
	v_mul_f32_e32 v74, 0xbf08b237, v76
	v_sub_f32_e32 v44, v44, v69
	v_mul_f32_e32 v76, 0x3f5ff5aa, v17
	v_dual_sub_f32 v46, v69, v46 :: v_dual_add_f32 v75, v42, v40
	v_sub_f32_e32 v77, v42, v40
	s_delay_alu instid0(VALU_DEP_4)
	v_mul_f32_e32 v44, 0x3f4a47b2, v44
	v_sub_f32_e32 v42, v39, v42
	v_dual_sub_f32 v40, v40, v39 :: v_dual_sub_f32 v45, v47, v45
	v_sub_f32_e32 v43, v43, v47
	v_add_f32_e32 v47, v47, v70
	v_fma_f32 v17, 0x3f5ff5aa, v17, -v74
	s_delay_alu instid0(VALU_DEP_4) | instskip(SKIP_1) | instid1(VALU_DEP_3)
	v_dual_mul_f32 v70, 0x3d64c772, v45 :: v_dual_add_f32 v69, v69, v71
	v_dual_mul_f32 v71, 0x3d64c772, v46 :: v_dual_fmamk_f32 v46, v46, 0x3d64c772, v44
	v_fmac_f32_e32 v17, 0x3ee1c552, v16
	s_delay_alu instid0(VALU_DEP_3) | instskip(NEXT) | instid1(VALU_DEP_4)
	v_fma_f32 v70, 0x3f3bfb3b, v72, -v70
	v_add_f32_e32 v38, v38, v69
	s_delay_alu instid0(VALU_DEP_4) | instskip(SKIP_3) | instid1(VALU_DEP_3)
	v_fma_f32 v71, 0x3f3bfb3b, v73, -v71
	v_mul_f32_e32 v43, 0x3f4a47b2, v43
	v_add_f32_e32 v37, v37, v47
	v_fma_f32 v44, 0xbf3bfb3b, v73, -v44
	v_fmamk_f32 v45, v45, 0x3d64c772, v43
	v_fma_f32 v43, 0xbf3bfb3b, v72, -v43
	v_dual_fmamk_f32 v72, v41, 0x3eae86e6, v74 :: v_dual_add_f32 v39, v75, v39
	v_mul_f32_e32 v75, 0xbf08b237, v77
	s_delay_alu instid0(VALU_DEP_2) | instskip(NEXT) | instid1(VALU_DEP_2)
	v_fmac_f32_e32 v72, 0x3ee1c552, v16
	v_fmamk_f32 v73, v42, 0x3eae86e6, v75
	v_fma_f32 v74, 0x3f5ff5aa, v40, -v75
	v_fma_f32 v75, 0xbeae86e6, v41, -v76
	s_delay_alu instid0(VALU_DEP_1) | instskip(SKIP_2) | instid1(VALU_DEP_2)
	v_fmac_f32_e32 v75, 0x3ee1c552, v16
	v_mul_f32_e32 v77, 0x3f5ff5aa, v40
	v_fmamk_f32 v40, v47, 0xbf955555, v37
	v_fma_f32 v76, 0xbeae86e6, v42, -v77
	s_delay_alu instid0(VALU_DEP_2) | instskip(SKIP_3) | instid1(VALU_DEP_3)
	v_add_f32_e32 v16, v45, v40
	v_fmamk_f32 v41, v69, 0xbf955555, v38
	v_add_f32_e32 v45, v70, v40
	v_add_f32_e32 v69, v43, v40
	;; [unrolled: 1-line block ×5, first 2 shown]
	s_delay_alu instid0(VALU_DEP_3) | instskip(NEXT) | instid1(VALU_DEP_3)
	v_sub_f32_e32 v40, v47, v72
	v_dual_add_f32 v44, v17, v46 :: v_dual_fmac_f32 v73, 0x3ee1c552, v39
	v_fmac_f32_e32 v74, 0x3ee1c552, v39
	v_fmac_f32_e32 v76, 0x3ee1c552, v39
	v_sub_f32_e32 v42, v70, v75
	s_delay_alu instid0(VALU_DEP_4) | instskip(NEXT) | instid1(VALU_DEP_4)
	v_dual_sub_f32 v46, v46, v17 :: v_dual_add_f32 v39, v73, v16
	v_sub_f32_e32 v43, v45, v74
	s_delay_alu instid0(VALU_DEP_4)
	v_add_f32_e32 v41, v76, v69
	v_add_f32_e32 v45, v74, v45
	v_dual_sub_f32 v69, v69, v76 :: v_dual_add_f32 v70, v75, v70
	v_sub_f32_e32 v16, v16, v73
	v_add_f32_e32 v17, v72, v47
	ds_store_2addr_b64 v63, v[37:38], v[39:40] offset1:42
	ds_store_2addr_b64 v63, v[41:42], v[43:44] offset0:84 offset1:126
	ds_store_2addr_b64 v63, v[45:46], v[69:70] offset0:168 offset1:210
	ds_store_b64 v63, v[16:17] offset:2016
	global_wb scope:SCOPE_SE
	s_wait_dscnt 0x0
	s_barrier_signal -1
	s_barrier_wait -1
	global_inv scope:SCOPE_SE
	s_clause 0x5
	global_load_b64 v[45:46], v[48:49], off offset:2352
	global_load_b64 v[73:74], v36, s[0:1] offset:392
	global_load_b64 v[75:76], v36, s[0:1] offset:784
	;; [unrolled: 1-line block ×5, first 2 shown]
	ds_load_2addr_b64 v[37:40], v63 offset1:49
	ds_load_2addr_b64 v[41:44], v63 offset0:98 offset1:147
	ds_load_2addr_b64 v[69:72], v63 offset0:196 offset1:245
	s_wait_loadcnt_dscnt 0x502
	v_mul_f32_e32 v84, v38, v46
	v_mul_f32_e32 v47, v37, v46
	s_wait_loadcnt 0x4
	v_mul_f32_e32 v85, v40, v74
	s_wait_loadcnt_dscnt 0x100
	v_dual_mul_f32 v83, v39, v74 :: v_dual_mul_f32 v88, v70, v80
	v_mul_f32_e32 v86, v42, v76
	v_dual_mul_f32 v74, v41, v76 :: v_dual_mul_f32 v87, v44, v78
	v_mul_f32_e32 v76, v43, v78
	s_wait_loadcnt 0x0
	v_dual_mul_f32 v78, v69, v80 :: v_dual_mul_f32 v89, v72, v82
	v_mul_f32_e32 v80, v71, v82
	v_fma_f32 v46, v37, v45, -v84
	v_fmac_f32_e32 v47, v38, v45
	v_fma_f32 v82, v39, v73, -v85
	v_fmac_f32_e32 v83, v40, v73
	;; [unrolled: 2-line block ×6, first 2 shown]
	ds_store_2addr_b64 v63, v[46:47], v[82:83] offset1:49
	ds_store_2addr_b64 v63, v[73:74], v[75:76] offset0:98 offset1:147
	ds_store_2addr_b64 v63, v[77:78], v[79:80] offset0:196 offset1:245
	s_and_saveexec_b32 s2, vcc_lo
	s_cbranch_execz .LBB0_9
; %bb.8:
	s_wait_alu 0xfffe
	v_add_co_u32 v36, s0, s0, v36
	s_wait_alu 0xf1ff
	v_add_co_ci_u32_e64 v37, null, s1, 0, s0
	s_clause 0x5
	global_load_b64 v[69:70], v[36:37], off offset:336
	global_load_b64 v[71:72], v[36:37], off offset:728
	;; [unrolled: 1-line block ×6, first 2 shown]
	ds_load_2addr_b64 v[36:39], v63 offset0:42 offset1:91
	s_wait_loadcnt_dscnt 0x500
	v_dual_mul_f32 v83, v37, v70 :: v_dual_add_nc_u32 v82, 0x400, v63
	ds_load_2addr_b64 v[40:43], v63 offset0:140 offset1:189
	ds_load_2addr_b64 v[44:47], v82 offset0:110 offset1:159
	s_wait_loadcnt 0x4
	v_dual_mul_f32 v81, v36, v70 :: v_dual_mul_f32 v84, v39, v72
	s_delay_alu instid0(VALU_DEP_1)
	v_dual_mul_f32 v70, v38, v72 :: v_dual_fmac_f32 v81, v37, v69
	s_wait_loadcnt_dscnt 0x301
	v_mul_f32_e32 v85, v41, v74
	v_mul_f32_e32 v72, v40, v74
	s_wait_loadcnt_dscnt 0x100
	v_dual_mul_f32 v86, v43, v76 :: v_dual_mul_f32 v87, v45, v78
	v_mul_f32_e32 v74, v42, v76
	v_mul_f32_e32 v76, v44, v78
	s_wait_loadcnt 0x0
	v_mul_f32_e32 v88, v47, v80
	v_mul_f32_e32 v78, v46, v80
	v_fma_f32 v80, v36, v69, -v83
	v_fma_f32 v69, v38, v71, -v84
	v_fmac_f32_e32 v70, v39, v71
	v_fma_f32 v71, v40, v73, -v85
	v_fmac_f32_e32 v72, v41, v73
	v_fma_f32 v73, v42, v75, -v86
	v_fmac_f32_e32 v74, v43, v75
	v_fma_f32 v75, v44, v77, -v87
	v_fmac_f32_e32 v76, v45, v77
	v_fma_f32 v77, v46, v79, -v88
	v_fmac_f32_e32 v78, v47, v79
	ds_store_2addr_b64 v63, v[80:81], v[69:70] offset0:42 offset1:91
	ds_store_2addr_b64 v63, v[71:72], v[73:74] offset0:140 offset1:189
	;; [unrolled: 1-line block ×3, first 2 shown]
.LBB0_9:
	s_wait_alu 0xfffe
	s_or_b32 exec_lo, exec_lo, s2
	global_wb scope:SCOPE_SE
	s_wait_dscnt 0x0
	s_barrier_signal -1
	s_barrier_wait -1
	global_inv scope:SCOPE_SE
	ds_load_2addr_b64 v[36:39], v63 offset1:49
	ds_load_2addr_b64 v[44:47], v63 offset0:98 offset1:147
	ds_load_2addr_b64 v[40:43], v63 offset0:196 offset1:245
	s_and_saveexec_b32 s0, vcc_lo
	s_cbranch_execz .LBB0_11
; %bb.10:
	v_lshl_add_u32 v12, v64, 3, v65
	ds_load_2addr_b64 v[18:21], v12 offset0:91 offset1:140
	ds_load_2addr_b64 v[69:72], v12 offset0:189 offset1:238
	ds_load_b64 v[16:17], v63 offset:336
	ds_load_b64 v[14:15], v12 offset:2296
	s_wait_dscnt 0x2
	v_dual_mov_b32 v22, v69 :: v_dual_mov_b32 v23, v70
	v_dual_mov_b32 v12, v71 :: v_dual_mov_b32 v13, v72
.LBB0_11:
	s_wait_alu 0xfffe
	s_or_b32 exec_lo, exec_lo, s0
	s_wait_dscnt 0x0
	v_dual_add_f32 v69, v44, v40 :: v_dual_add_f32 v72, v45, v41
	v_dual_add_f32 v70, v36, v44 :: v_dual_sub_f32 v71, v45, v41
	global_wb scope:SCOPE_SE
	v_fma_f32 v69, -0.5, v69, v36
	v_dual_add_f32 v36, v37, v45 :: v_dual_add_f32 v45, v70, v40
	v_sub_f32_e32 v44, v44, v40
	v_fma_f32 v70, -0.5, v72, v37
	v_add_f32_e32 v37, v47, v43
	v_fmamk_f32 v72, v71, 0xbf5db3d7, v69
	v_fmac_f32_e32 v69, 0x3f5db3d7, v71
	v_add_f32_e32 v71, v36, v41
	v_dual_fmamk_f32 v73, v44, 0x3f5db3d7, v70 :: v_dual_add_f32 v40, v39, v47
	v_dual_add_f32 v36, v46, v42 :: v_dual_fmac_f32 v39, -0.5, v37
	v_dual_sub_f32 v37, v46, v42 :: v_dual_fmac_f32 v70, 0xbf5db3d7, v44
	v_add_f32_e32 v41, v38, v46
	s_delay_alu instid0(VALU_DEP_3) | instskip(SKIP_1) | instid1(VALU_DEP_4)
	v_fma_f32 v38, -0.5, v36, v38
	v_sub_f32_e32 v36, v47, v43
	v_fmamk_f32 v44, v37, 0x3f5db3d7, v39
	s_delay_alu instid0(VALU_DEP_4) | instskip(SKIP_1) | instid1(VALU_DEP_3)
	v_dual_fmac_f32 v39, 0xbf5db3d7, v37 :: v_dual_add_f32 v42, v41, v42
	v_add_f32_e32 v43, v40, v43
	v_dual_fmamk_f32 v37, v36, 0xbf5db3d7, v38 :: v_dual_mul_f32 v46, 0xbf5db3d7, v44
	v_fmac_f32_e32 v38, 0x3f5db3d7, v36
	s_delay_alu instid0(VALU_DEP_4) | instskip(NEXT) | instid1(VALU_DEP_3)
	v_dual_mul_f32 v47, 0xbf5db3d7, v39 :: v_dual_mul_f32 v74, 0.5, v44
	v_dual_mul_f32 v75, -0.5, v39 :: v_dual_fmac_f32 v46, 0.5, v37
	v_add_f32_e32 v36, v45, v42
	s_delay_alu instid0(VALU_DEP_3) | instskip(NEXT) | instid1(VALU_DEP_3)
	v_dual_fmac_f32 v47, -0.5, v38 :: v_dual_fmac_f32 v74, 0x3f5db3d7, v37
	v_fmac_f32_e32 v75, 0x3f5db3d7, v38
	v_dual_add_f32 v37, v71, v43 :: v_dual_sub_f32 v42, v45, v42
	v_sub_f32_e32 v43, v71, v43
	s_delay_alu instid0(VALU_DEP_4) | instskip(NEXT) | instid1(VALU_DEP_4)
	v_add_f32_e32 v40, v69, v47
	v_dual_add_f32 v38, v72, v46 :: v_dual_add_f32 v41, v70, v75
	v_add_f32_e32 v39, v73, v74
	v_sub_f32_e32 v44, v72, v46
	v_sub_f32_e32 v46, v69, v47
	;; [unrolled: 1-line block ×4, first 2 shown]
	s_barrier_signal -1
	s_barrier_wait -1
	global_inv scope:SCOPE_SE
	ds_store_b128 v68, v[36:39]
	ds_store_b128 v68, v[40:43] offset:16
	ds_store_b128 v68, v[44:47] offset:32
	s_and_saveexec_b32 s0, vcc_lo
	s_cbranch_execz .LBB0_13
; %bb.12:
	v_dual_add_f32 v36, v23, v15 :: v_dual_add_f32 v37, v21, v13
	v_dual_add_f32 v38, v22, v14 :: v_dual_sub_f32 v41, v23, v15
	v_dual_sub_f32 v39, v22, v14 :: v_dual_sub_f32 v40, v20, v12
	s_delay_alu instid0(VALU_DEP_3) | instskip(NEXT) | instid1(VALU_DEP_3)
	v_fma_f32 v36, -0.5, v36, v19
	v_fma_f32 v38, -0.5, v38, v18
	v_add_f32_e32 v42, v17, v21
	v_fma_f32 v37, -0.5, v37, v17
	v_add_f32_e32 v17, v20, v12
	v_fmamk_f32 v43, v39, 0xbf5db3d7, v36
	v_fmac_f32_e32 v36, 0x3f5db3d7, v39
	v_fmamk_f32 v39, v41, 0x3f5db3d7, v38
	v_dual_fmac_f32 v38, 0xbf5db3d7, v41 :: v_dual_fmamk_f32 v45, v40, 0xbf5db3d7, v37
	s_delay_alu instid0(VALU_DEP_3)
	v_dual_mul_f32 v41, -0.5, v43 :: v_dual_mul_f32 v44, 0.5, v36
	v_dual_fmac_f32 v37, 0x3f5db3d7, v40 :: v_dual_add_f32 v40, v42, v13
	v_fma_f32 v42, -0.5, v17, v16
	v_sub_f32_e32 v13, v21, v13
	v_add_f32_e32 v23, v19, v23
	v_dual_fmac_f32 v41, 0x3f5db3d7, v39 :: v_dual_fmac_f32 v44, 0x3f5db3d7, v38
	v_mul_f32_e32 v36, 0xbf5db3d7, v36
	s_delay_alu instid0(VALU_DEP_3) | instskip(SKIP_1) | instid1(VALU_DEP_4)
	v_dual_fmamk_f32 v46, v13, 0x3f5db3d7, v42 :: v_dual_add_f32 v21, v23, v15
	v_dual_add_f32 v15, v16, v20 :: v_dual_add_f32 v16, v18, v22
	v_sub_f32_e32 v19, v45, v41
	s_delay_alu instid0(VALU_DEP_4) | instskip(NEXT) | instid1(VALU_DEP_3)
	v_dual_sub_f32 v17, v37, v44 :: v_dual_fmac_f32 v36, 0.5, v38
	v_add_f32_e32 v12, v15, v12
	s_delay_alu instid0(VALU_DEP_4) | instskip(SKIP_2) | instid1(VALU_DEP_3)
	v_dual_add_f32 v16, v16, v14 :: v_dual_mul_f32 v43, 0xbf5db3d7, v43
	v_fmac_f32_e32 v42, 0xbf5db3d7, v13
	v_sub_f32_e32 v15, v40, v21
	v_dual_add_f32 v13, v45, v41 :: v_dual_add_f32 v20, v12, v16
	s_delay_alu instid0(VALU_DEP_4)
	v_dual_fmac_f32 v43, -0.5, v39 :: v_dual_sub_f32 v14, v12, v16
	v_add_f32_e32 v23, v37, v44
	v_dual_add_f32 v21, v40, v21 :: v_dual_sub_f32 v16, v42, v36
	v_add_f32_e32 v22, v42, v36
	v_lshl_add_u32 v37, v66, 3, v65
	v_add_f32_e32 v12, v46, v43
	v_sub_f32_e32 v18, v46, v43
	ds_store_b128 v37, v[20:23]
	ds_store_b128 v37, v[12:15] offset:16
	ds_store_b128 v37, v[16:19] offset:32
.LBB0_13:
	s_wait_alu 0xfffe
	s_or_b32 exec_lo, exec_lo, s0
	global_wb scope:SCOPE_SE
	s_wait_dscnt 0x0
	s_barrier_signal -1
	s_barrier_wait -1
	global_inv scope:SCOPE_SE
	ds_load_2addr_b64 v[12:15], v63 offset1:42
	ds_load_2addr_b64 v[16:19], v63 offset0:84 offset1:126
	ds_load_2addr_b64 v[20:23], v63 offset0:168 offset1:210
	ds_load_b64 v[36:37], v63 offset:2016
	global_wb scope:SCOPE_SE
	s_wait_dscnt 0x0
	s_barrier_signal -1
	s_barrier_wait -1
	global_inv scope:SCOPE_SE
	s_mov_b32 s2, 0x899406f7
	s_mov_b32 s3, 0x3f6bdd2b
	v_dual_mul_f32 v38, v9, v15 :: v_dual_mul_f32 v39, v11, v17
	v_dual_mul_f32 v11, v11, v16 :: v_dual_mul_f32 v40, v5, v19
	v_mul_f32_e32 v43, v3, v37
	v_dual_mul_f32 v41, v7, v21 :: v_dual_mul_f32 v42, v1, v23
	s_delay_alu instid0(VALU_DEP_4) | instskip(NEXT) | instid1(VALU_DEP_4)
	v_dual_mul_f32 v7, v7, v20 :: v_dual_fmac_f32 v38, v8, v14
	v_dual_mul_f32 v3, v3, v36 :: v_dual_fmac_f32 v40, v4, v18
	s_delay_alu instid0(VALU_DEP_3)
	v_dual_fmac_f32 v42, v0, v22 :: v_dual_fmac_f32 v43, v2, v36
	v_mul_f32_e32 v9, v9, v14
	v_fmac_f32_e32 v41, v6, v20
	v_mul_f32_e32 v1, v1, v22
	v_fma_f32 v2, v2, v37, -v3
	v_fma_f32 v3, v6, v21, -v7
	v_sub_f32_e32 v6, v38, v43
	v_fma_f32 v8, v8, v15, -v9
	v_fmac_f32_e32 v39, v10, v16
	v_fma_f32 v9, v10, v17, -v11
	v_fma_f32 v0, v0, v23, -v1
	v_add_f32_e32 v1, v38, v43
	s_delay_alu instid0(VALU_DEP_4) | instskip(SKIP_1) | instid1(VALU_DEP_1)
	v_add_f32_e32 v7, v39, v42
	v_mul_f32_e32 v5, v5, v18
	v_fma_f32 v4, v4, v19, -v5
	v_add_f32_e32 v5, v8, v2
	v_sub_f32_e32 v2, v8, v2
	v_sub_f32_e32 v10, v39, v42
	;; [unrolled: 1-line block ×3, first 2 shown]
	v_add_f32_e32 v8, v9, v0
	v_dual_sub_f32 v0, v9, v0 :: v_dual_add_f32 v9, v40, v41
	v_sub_f32_e32 v16, v7, v1
	s_delay_alu instid0(VALU_DEP_4)
	v_dual_sub_f32 v20, v14, v10 :: v_dual_add_f32 v11, v4, v3
	v_sub_f32_e32 v3, v3, v4
	v_add_f32_e32 v4, v7, v1
	v_add_f32_e32 v15, v8, v5
	v_sub_f32_e32 v17, v8, v5
	v_sub_f32_e32 v18, v1, v9
	;; [unrolled: 1-line block ×3, first 2 shown]
	v_add_f32_e32 v4, v9, v4
	v_sub_f32_e32 v7, v9, v7
	v_add_f32_e32 v1, v14, v10
	v_dual_sub_f32 v14, v6, v14 :: v_dual_add_f32 v19, v3, v0
	v_sub_f32_e32 v5, v5, v11
	v_dual_sub_f32 v21, v3, v0 :: v_dual_sub_f32 v10, v10, v6
	v_add_f32_e32 v9, v11, v15
	v_sub_f32_e32 v11, v0, v2
	v_dual_add_f32 v0, v12, v4 :: v_dual_sub_f32 v3, v2, v3
	v_mul_f32_e32 v12, 0x3f4a47b2, v18
	v_mul_f32_e32 v18, 0x3f08b237, v20
	;; [unrolled: 1-line block ×3, first 2 shown]
	v_add_f32_e32 v6, v1, v6
	v_add_f32_e32 v2, v19, v2
	v_fmamk_f32 v4, v4, 0xbf955555, v0
	v_mul_f32_e32 v5, 0x3f4a47b2, v5
	v_add_f32_e32 v1, v13, v9
	v_mul_f32_e32 v15, 0x3d64c772, v8
	v_fma_f32 v10, 0xbf5ff5aa, v10, -v18
	s_delay_alu instid0(VALU_DEP_4) | instskip(NEXT) | instid1(VALU_DEP_4)
	v_fmamk_f32 v8, v8, 0x3d64c772, v5
	v_fmamk_f32 v9, v9, 0xbf955555, v1
	v_mul_f32_e32 v13, 0x3d64c772, v7
	v_fmamk_f32 v7, v7, 0x3d64c772, v12
	v_fma_f32 v12, 0xbf3bfb3b, v16, -v12
	v_mul_f32_e32 v19, 0x3f08b237, v21
	v_fma_f32 v15, 0x3f3bfb3b, v17, -v15
	v_fma_f32 v13, 0x3f3bfb3b, v16, -v13
	v_fmamk_f32 v16, v14, 0xbeae86e6, v18
	v_dual_add_f32 v12, v12, v4 :: v_dual_mul_f32 v21, 0xbf5ff5aa, v11
	v_fma_f32 v11, 0xbf5ff5aa, v11, -v19
	v_fma_f32 v14, 0x3eae86e6, v14, -v20
	v_add_f32_e32 v20, v8, v9
	v_add_f32_e32 v8, v13, v4
	v_fma_f32 v5, 0xbf3bfb3b, v17, -v5
	v_fmamk_f32 v17, v3, 0xbeae86e6, v19
	v_fma_f32 v18, 0x3eae86e6, v3, -v21
	v_dual_add_f32 v19, v7, v4 :: v_dual_fmac_f32 v16, 0xbee1c552, v6
	v_fmac_f32_e32 v10, 0xbee1c552, v6
	s_delay_alu instid0(VALU_DEP_4) | instskip(SKIP_1) | instid1(VALU_DEP_4)
	v_fmac_f32_e32 v17, 0xbee1c552, v2
	v_fmac_f32_e32 v11, 0xbee1c552, v2
	v_dual_fmac_f32 v18, 0xbee1c552, v2 :: v_dual_sub_f32 v3, v20, v16
	v_fmac_f32_e32 v14, 0xbee1c552, v6
	s_delay_alu instid0(VALU_DEP_4) | instskip(NEXT) | instid1(VALU_DEP_4)
	v_add_f32_e32 v2, v17, v19
	v_dual_sub_f32 v6, v8, v11 :: v_dual_add_f32 v13, v15, v9
	s_delay_alu instid0(VALU_DEP_4) | instskip(NEXT) | instid1(VALU_DEP_2)
	v_dual_add_f32 v15, v5, v9 :: v_dual_add_f32 v4, v18, v12
	v_add_f32_e32 v7, v10, v13
	v_sub_f32_e32 v9, v13, v10
	v_sub_f32_e32 v10, v12, v18
	;; [unrolled: 1-line block ×3, first 2 shown]
	v_add_f32_e32 v8, v11, v8
	v_sub_f32_e32 v5, v15, v14
	v_add_f32_e32 v11, v14, v15
	v_add_f32_e32 v13, v16, v20
	ds_store_2addr_b64 v67, v[0:1], v[2:3] offset1:6
	ds_store_2addr_b64 v67, v[4:5], v[6:7] offset0:12 offset1:18
	ds_store_2addr_b64 v67, v[8:9], v[10:11] offset0:24 offset1:30
	ds_store_b64 v67, v[12:13] offset:288
	global_wb scope:SCOPE_SE
	s_wait_dscnt 0x0
	s_barrier_signal -1
	s_barrier_wait -1
	global_inv scope:SCOPE_SE
	ds_load_2addr_b64 v[0:3], v63 offset1:42
	ds_load_2addr_b64 v[4:7], v63 offset0:84 offset1:126
	ds_load_2addr_b64 v[8:11], v63 offset0:168 offset1:210
	ds_load_b64 v[12:13], v63 offset:2016
	s_wait_dscnt 0x3
	v_mul_f32_e32 v14, v33, v3
	v_mul_f32_e32 v15, v33, v2
	s_wait_dscnt 0x2
	v_mul_f32_e32 v16, v29, v7
	s_wait_dscnt 0x1
	v_dual_mul_f32 v18, v31, v9 :: v_dual_mul_f32 v17, v29, v6
	v_fmac_f32_e32 v14, v32, v2
	s_delay_alu instid0(VALU_DEP_3) | instskip(NEXT) | instid1(VALU_DEP_3)
	v_fmac_f32_e32 v16, v28, v6
	v_fmac_f32_e32 v18, v30, v8
	s_wait_dscnt 0x0
	v_mul_f32_e32 v6, v27, v13
	v_mul_f32_e32 v8, v31, v8
	v_fma_f32 v2, v32, v3, -v15
	s_delay_alu instid0(VALU_DEP_3) | instskip(SKIP_1) | instid1(VALU_DEP_4)
	v_dual_mul_f32 v3, v35, v5 :: v_dual_fmac_f32 v6, v26, v12
	v_mul_f32_e32 v15, v35, v4
	v_fma_f32 v8, v30, v9, -v8
	s_delay_alu instid0(VALU_DEP_3) | instskip(NEXT) | instid1(VALU_DEP_3)
	v_fmac_f32_e32 v3, v34, v4
	v_fma_f32 v4, v34, v5, -v15
	v_fma_f32 v5, v28, v7, -v17
	v_mul_f32_e32 v17, v25, v10
	v_mul_f32_e32 v7, v27, v12
	s_delay_alu instid0(VALU_DEP_2) | instskip(NEXT) | instid1(VALU_DEP_1)
	v_fma_f32 v9, v24, v11, -v17
	v_dual_mul_f32 v15, v25, v11 :: v_dual_add_f32 v12, v4, v9
	v_sub_f32_e32 v4, v4, v9
	s_delay_alu instid0(VALU_DEP_2)
	v_fmac_f32_e32 v15, v24, v10
	v_add_f32_e32 v10, v14, v6
	v_sub_f32_e32 v6, v14, v6
	v_sub_f32_e32 v14, v18, v16
	v_fma_f32 v7, v26, v13, -v7
	v_add_f32_e32 v9, v16, v18
	v_mad_co_u64_u32 v[24:25], null, s6, v50, 0
	v_mad_co_u64_u32 v[26:27], null, s4, v64, 0
	s_delay_alu instid0(VALU_DEP_4) | instskip(SKIP_4) | instid1(VALU_DEP_3)
	v_add_f32_e32 v11, v2, v7
	v_sub_f32_e32 v2, v2, v7
	v_add_f32_e32 v7, v3, v15
	v_add_f32_e32 v13, v5, v8
	v_mad_co_u64_u32 v[28:29], null, s7, v50, v[25:26]
	v_sub_f32_e32 v16, v7, v10
	v_sub_f32_e32 v3, v3, v15
	v_dual_sub_f32 v5, v8, v5 :: v_dual_add_f32 v8, v7, v10
	v_add_f32_e32 v15, v12, v11
	v_dual_sub_f32 v17, v12, v11 :: v_dual_sub_f32 v12, v13, v12
	s_delay_alu instid0(VALU_DEP_4) | instskip(NEXT) | instid1(VALU_DEP_4)
	v_add_f32_e32 v18, v14, v3
	v_add_f32_e32 v8, v9, v8
	v_dual_sub_f32 v10, v10, v9 :: v_dual_sub_f32 v7, v9, v7
	v_dual_sub_f32 v20, v14, v3 :: v_dual_add_f32 v19, v5, v4
	v_sub_f32_e32 v14, v6, v14
	s_delay_alu instid0(VALU_DEP_3) | instskip(SKIP_3) | instid1(VALU_DEP_3)
	v_dual_mul_f32 v10, 0x3f4a47b2, v10 :: v_dual_sub_f32 v21, v5, v4
	v_dual_sub_f32 v5, v2, v5 :: v_dual_add_f32 v0, v0, v8
	v_add_f32_e32 v9, v13, v15
	v_dual_sub_f32 v11, v11, v13 :: v_dual_sub_f32 v4, v4, v2
	v_dual_sub_f32 v3, v3, v6 :: v_dual_fmamk_f32 v8, v8, 0xbf955555, v0
	s_delay_alu instid0(VALU_DEP_3) | instskip(SKIP_1) | instid1(VALU_DEP_3)
	v_dual_add_f32 v1, v1, v9 :: v_dual_add_f32 v6, v18, v6
	v_mul_f32_e32 v18, 0x3f08b237, v20
	v_mul_f32_e32 v20, 0xbf5ff5aa, v3
	s_delay_alu instid0(VALU_DEP_3)
	v_dual_add_f32 v2, v19, v2 :: v_dual_fmamk_f32 v9, v9, 0xbf955555, v1
	v_mul_f32_e32 v11, 0x3f4a47b2, v11
	v_mul_f32_e32 v13, 0x3d64c772, v7
	;; [unrolled: 1-line block ×3, first 2 shown]
	v_fmamk_f32 v7, v7, 0x3d64c772, v10
	v_fma_f32 v10, 0xbf3bfb3b, v16, -v10
	v_fmamk_f32 v12, v12, 0x3d64c772, v11
	v_fma_f32 v13, 0x3f3bfb3b, v16, -v13
	v_mul_f32_e32 v19, 0x3f08b237, v21
	v_fma_f32 v15, 0x3f3bfb3b, v17, -v15
	v_add_f32_e32 v10, v10, v8
	v_dual_mul_f32 v21, 0xbf5ff5aa, v4 :: v_dual_add_f32 v22, v12, v9
	v_fma_f32 v11, 0xbf3bfb3b, v17, -v11
	v_add_f32_e32 v12, v13, v8
	v_dual_fmamk_f32 v16, v14, 0xbeae86e6, v18 :: v_dual_fmamk_f32 v17, v5, 0xbeae86e6, v19
	v_fma_f32 v19, 0xbf5ff5aa, v4, -v19
	v_fma_f32 v18, 0xbf5ff5aa, v3, -v18
	;; [unrolled: 1-line block ×4, first 2 shown]
	v_dual_add_f32 v13, v15, v9 :: v_dual_fmac_f32 v16, 0xbee1c552, v6
	v_fmac_f32_e32 v19, 0xbee1c552, v2
	v_dual_add_f32 v11, v11, v9 :: v_dual_fmac_f32 v18, 0xbee1c552, v6
	s_delay_alu instid0(VALU_DEP_4) | instskip(NEXT) | instid1(VALU_DEP_4)
	v_fmac_f32_e32 v20, 0xbee1c552, v2
	v_dual_fmac_f32 v14, 0xbee1c552, v6 :: v_dual_sub_f32 v3, v22, v16
	s_delay_alu instid0(VALU_DEP_4) | instskip(NEXT) | instid1(VALU_DEP_3)
	v_dual_sub_f32 v6, v12, v19 :: v_dual_add_f32 v21, v7, v8
	v_add_f32_e32 v4, v20, v10
	v_dual_sub_f32 v10, v10, v20 :: v_dual_fmac_f32 v17, 0xbee1c552, v2
	v_add_f32_e32 v8, v19, v12
	v_sub_f32_e32 v5, v11, v14
	v_add_f32_e32 v7, v18, v13
	v_sub_f32_e32 v9, v13, v18
	v_dual_add_f32 v2, v17, v21 :: v_dual_add_f32 v11, v14, v11
	v_dual_sub_f32 v12, v21, v17 :: v_dual_add_f32 v13, v16, v22
	ds_store_2addr_b64 v63, v[0:1], v[2:3] offset1:42
	ds_store_2addr_b64 v63, v[4:5], v[6:7] offset0:84 offset1:126
	ds_store_2addr_b64 v63, v[8:9], v[10:11] offset0:168 offset1:210
	ds_store_b64 v63, v[12:13] offset:2016
	global_wb scope:SCOPE_SE
	s_wait_dscnt 0x0
	s_barrier_signal -1
	s_barrier_wait -1
	global_inv scope:SCOPE_SE
	ds_load_2addr_b64 v[0:3], v63 offset1:49
	ds_load_2addr_b64 v[4:7], v63 offset0:98 offset1:147
	v_mad_co_u64_u32 v[29:30], null, s5, v64, v[27:28]
	v_mov_b32_e32 v25, v28
	s_mul_u64 s[6:7], s[4:5], 49
	s_wait_alu 0xfffe
	s_lshl_b64 s[6:7], s[6:7], 3
	s_wait_dscnt 0x1
	s_delay_alu instid0(VALU_DEP_2)
	v_dual_mov_b32 v27, v29 :: v_dual_mul_f32 v8, v62, v0
	v_mul_f32_e32 v12, v62, v1
	s_wait_dscnt 0x0
	v_dual_mul_f32 v14, v54, v3 :: v_dual_mul_f32 v17, v56, v4
	v_dual_mul_f32 v15, v54, v2 :: v_dual_mul_f32 v18, v52, v7
	v_fma_f32 v13, v61, v1, -v8
	ds_load_2addr_b64 v[8:11], v63 offset0:196 offset1:245
	v_fmac_f32_e32 v12, v61, v0
	v_mul_f32_e32 v16, v56, v5
	v_fmac_f32_e32 v14, v53, v2
	v_fmac_f32_e32 v18, v51, v6
	v_mul_f32_e32 v6, v52, v6
	v_cvt_f64_f32_e32 v[0:1], v12
	v_cvt_f64_f32_e32 v[12:13], v13
	v_fmac_f32_e32 v16, v55, v4
	v_fma_f32 v15, v53, v3, -v15
	v_fma_f32 v17, v55, v5, -v17
	;; [unrolled: 1-line block ×3, first 2 shown]
	v_cvt_f64_f32_e32 v[18:19], v18
	s_delay_alu instid0(VALU_DEP_4) | instskip(NEXT) | instid1(VALU_DEP_3)
	v_cvt_f64_f32_e32 v[4:5], v15
	v_cvt_f64_f32_e32 v[6:7], v6
	s_wait_dscnt 0x0
	v_mul_f32_e32 v23, v60, v10
	v_mul_f32_e32 v21, v58, v8
	;; [unrolled: 1-line block ×4, first 2 shown]
	v_cvt_f64_f32_e32 v[2:3], v14
	v_fma_f32 v23, v59, v11, -v23
	v_fma_f32 v21, v57, v9, -v21
	v_fmac_f32_e32 v20, v57, v8
	v_fmac_f32_e32 v22, v59, v10
	v_cvt_f64_f32_e32 v[14:15], v16
	v_cvt_f64_f32_e32 v[16:17], v17
	;; [unrolled: 1-line block ×6, first 2 shown]
	v_mul_f64_e32 v[0:1], s[2:3], v[0:1]
	v_mul_f64_e32 v[12:13], s[2:3], v[12:13]
	;; [unrolled: 1-line block ×12, first 2 shown]
	v_cvt_f32_f64_e32 v0, v[0:1]
	v_cvt_f32_f64_e32 v1, v[12:13]
	v_lshlrev_b64_e32 v[12:13], 3, v[24:25]
	v_lshlrev_b64_e32 v[24:25], 3, v[26:27]
	v_cvt_f32_f64_e32 v2, v[2:3]
	v_cvt_f32_f64_e32 v3, v[4:5]
	;; [unrolled: 1-line block ×6, first 2 shown]
	v_add_co_u32 v10, s0, s10, v12
	v_cvt_f32_f64_e32 v14, v[18:19]
	v_cvt_f32_f64_e32 v6, v[8:9]
	s_wait_alu 0xf1ff
	v_add_co_ci_u32_e64 v11, s0, s11, v13, s0
	v_cvt_f32_f64_e32 v8, v[20:21]
	v_cvt_f32_f64_e32 v9, v[22:23]
	v_add_co_u32 v10, s0, v10, v24
	s_wait_alu 0xf1ff
	v_add_co_ci_u32_e64 v11, s0, v11, v25, s0
	s_wait_alu 0xfffe
	s_delay_alu instid0(VALU_DEP_2) | instskip(SKIP_1) | instid1(VALU_DEP_2)
	v_add_co_u32 v12, s0, v10, s6
	s_wait_alu 0xf1ff
	v_add_co_ci_u32_e64 v13, s0, s7, v11, s0
	global_store_b64 v[10:11], v[0:1], off
	v_add_co_u32 v16, s0, v12, s6
	s_wait_alu 0xf1ff
	v_add_co_ci_u32_e64 v17, s0, s7, v13, s0
	s_delay_alu instid0(VALU_DEP_2) | instskip(SKIP_1) | instid1(VALU_DEP_2)
	v_add_co_u32 v18, s0, v16, s6
	s_wait_alu 0xf1ff
	v_add_co_ci_u32_e64 v19, s0, s7, v17, s0
	s_delay_alu instid0(VALU_DEP_2) | instskip(SKIP_1) | instid1(VALU_DEP_2)
	;; [unrolled: 4-line block ×3, first 2 shown]
	v_add_co_u32 v0, s0, v20, s6
	s_wait_alu 0xf1ff
	v_add_co_ci_u32_e64 v1, s0, s7, v21, s0
	s_clause 0x3
	global_store_b64 v[12:13], v[2:3], off
	global_store_b64 v[16:17], v[4:5], off
	;; [unrolled: 1-line block ×5, first 2 shown]
	s_and_b32 exec_lo, exec_lo, vcc_lo
	s_cbranch_execz .LBB0_15
; %bb.14:
	s_clause 0x5
	global_load_b64 v[14:15], v[48:49], off offset:336
	global_load_b64 v[16:17], v[48:49], off offset:728
	;; [unrolled: 1-line block ×6, first 2 shown]
	ds_load_2addr_b64 v[2:5], v63 offset0:42 offset1:91
	v_add_nc_u32_e32 v10, 0x400, v63
	v_mad_co_u64_u32 v[0:1], null, 0xfffff9a8, s4, v[0:1]
	s_mul_i32 s0, s5, 0xfffff9a8
	s_wait_alu 0xfffe
	s_sub_co_i32 s0, s0, s4
	s_wait_loadcnt_dscnt 0x500
	s_wait_alu 0xfffe
	s_delay_alu instid0(VALU_DEP_1)
	v_dual_mul_f32 v26, v3, v15 :: v_dual_add_nc_u32 v1, s0, v1
	s_wait_loadcnt 0x4
	v_mul_f32_e32 v27, v5, v17
	v_mul_f32_e32 v17, v4, v17
	ds_load_2addr_b64 v[6:9], v63 offset0:140 offset1:189
	ds_load_2addr_b64 v[10:13], v10 offset0:110 offset1:159
	v_mul_f32_e32 v15, v2, v15
	v_fmac_f32_e32 v26, v2, v14
	s_delay_alu instid0(VALU_DEP_2) | instskip(SKIP_1) | instid1(VALU_DEP_3)
	v_fma_f32 v14, v14, v3, -v15
	v_fma_f32 v15, v16, v5, -v17
	v_cvt_f64_f32_e32 v[2:3], v26
	s_wait_loadcnt_dscnt 0x201
	v_dual_mul_f32 v28, v7, v19 :: v_dual_mul_f32 v29, v9, v21
	v_mul_f32_e32 v19, v6, v19
	s_wait_loadcnt_dscnt 0x100
	v_dual_mul_f32 v21, v8, v21 :: v_dual_mul_f32 v30, v11, v23
	v_mul_f32_e32 v23, v10, v23
	s_wait_loadcnt 0x0
	v_mul_f32_e32 v31, v13, v25
	v_dual_mul_f32 v25, v12, v25 :: v_dual_fmac_f32 v28, v6, v18
	v_dual_fmac_f32 v27, v4, v16 :: v_dual_fmac_f32 v30, v10, v22
	v_fma_f32 v16, v18, v7, -v19
	v_fmac_f32_e32 v29, v8, v20
	v_fma_f32 v17, v20, v9, -v21
	v_fma_f32 v20, v22, v11, -v23
	v_fmac_f32_e32 v31, v12, v24
	v_fma_f32 v24, v24, v13, -v25
	v_cvt_f64_f32_e32 v[4:5], v14
	v_cvt_f64_f32_e32 v[6:7], v27
	;; [unrolled: 1-line block ×11, first 2 shown]
	v_mul_f64_e32 v[2:3], s[2:3], v[2:3]
	v_mul_f64_e32 v[4:5], s[2:3], v[4:5]
	;; [unrolled: 1-line block ×12, first 2 shown]
	v_cvt_f32_f64_e32 v2, v[2:3]
	v_cvt_f32_f64_e32 v3, v[4:5]
	;; [unrolled: 1-line block ×12, first 2 shown]
	v_add_co_u32 v14, vcc_lo, v0, s6
	s_wait_alu 0xfffd
	v_add_co_ci_u32_e32 v15, vcc_lo, s7, v1, vcc_lo
	s_delay_alu instid0(VALU_DEP_2) | instskip(SKIP_1) | instid1(VALU_DEP_2)
	v_add_co_u32 v16, vcc_lo, v14, s6
	s_wait_alu 0xfffd
	v_add_co_ci_u32_e32 v17, vcc_lo, s7, v15, vcc_lo
	s_delay_alu instid0(VALU_DEP_2) | instskip(SKIP_1) | instid1(VALU_DEP_2)
	v_add_co_u32 v18, vcc_lo, v16, s6
	s_wait_alu 0xfffd
	v_add_co_ci_u32_e32 v19, vcc_lo, s7, v17, vcc_lo
	s_delay_alu instid0(VALU_DEP_2) | instskip(SKIP_1) | instid1(VALU_DEP_2)
	v_add_co_u32 v20, vcc_lo, v18, s6
	s_wait_alu 0xfffd
	v_add_co_ci_u32_e32 v21, vcc_lo, s7, v19, vcc_lo
	s_delay_alu instid0(VALU_DEP_2) | instskip(SKIP_1) | instid1(VALU_DEP_2)
	v_add_co_u32 v22, vcc_lo, v20, s6
	s_wait_alu 0xfffd
	v_add_co_ci_u32_e32 v23, vcc_lo, s7, v21, vcc_lo
	global_store_b64 v[0:1], v[2:3], off
	global_store_b64 v[14:15], v[4:5], off
	;; [unrolled: 1-line block ×6, first 2 shown]
.LBB0_15:
	s_nop 0
	s_sendmsg sendmsg(MSG_DEALLOC_VGPRS)
	s_endpgm
	.section	.rodata,"a",@progbits
	.p2align	6, 0x0
	.amdhsa_kernel bluestein_single_fwd_len294_dim1_sp_op_CI_CI
		.amdhsa_group_segment_fixed_size 7056
		.amdhsa_private_segment_fixed_size 0
		.amdhsa_kernarg_size 104
		.amdhsa_user_sgpr_count 2
		.amdhsa_user_sgpr_dispatch_ptr 0
		.amdhsa_user_sgpr_queue_ptr 0
		.amdhsa_user_sgpr_kernarg_segment_ptr 1
		.amdhsa_user_sgpr_dispatch_id 0
		.amdhsa_user_sgpr_private_segment_size 0
		.amdhsa_wavefront_size32 1
		.amdhsa_uses_dynamic_stack 0
		.amdhsa_enable_private_segment 0
		.amdhsa_system_sgpr_workgroup_id_x 1
		.amdhsa_system_sgpr_workgroup_id_y 0
		.amdhsa_system_sgpr_workgroup_id_z 0
		.amdhsa_system_sgpr_workgroup_info 0
		.amdhsa_system_vgpr_workitem_id 0
		.amdhsa_next_free_vgpr 90
		.amdhsa_next_free_sgpr 16
		.amdhsa_reserve_vcc 1
		.amdhsa_float_round_mode_32 0
		.amdhsa_float_round_mode_16_64 0
		.amdhsa_float_denorm_mode_32 3
		.amdhsa_float_denorm_mode_16_64 3
		.amdhsa_fp16_overflow 0
		.amdhsa_workgroup_processor_mode 1
		.amdhsa_memory_ordered 1
		.amdhsa_forward_progress 0
		.amdhsa_round_robin_scheduling 0
		.amdhsa_exception_fp_ieee_invalid_op 0
		.amdhsa_exception_fp_denorm_src 0
		.amdhsa_exception_fp_ieee_div_zero 0
		.amdhsa_exception_fp_ieee_overflow 0
		.amdhsa_exception_fp_ieee_underflow 0
		.amdhsa_exception_fp_ieee_inexact 0
		.amdhsa_exception_int_div_zero 0
	.end_amdhsa_kernel
	.text
.Lfunc_end0:
	.size	bluestein_single_fwd_len294_dim1_sp_op_CI_CI, .Lfunc_end0-bluestein_single_fwd_len294_dim1_sp_op_CI_CI
                                        ; -- End function
	.section	.AMDGPU.csdata,"",@progbits
; Kernel info:
; codeLenInByte = 7892
; NumSgprs: 18
; NumVgprs: 90
; ScratchSize: 0
; MemoryBound: 0
; FloatMode: 240
; IeeeMode: 1
; LDSByteSize: 7056 bytes/workgroup (compile time only)
; SGPRBlocks: 2
; VGPRBlocks: 11
; NumSGPRsForWavesPerEU: 18
; NumVGPRsForWavesPerEU: 90
; Occupancy: 16
; WaveLimiterHint : 1
; COMPUTE_PGM_RSRC2:SCRATCH_EN: 0
; COMPUTE_PGM_RSRC2:USER_SGPR: 2
; COMPUTE_PGM_RSRC2:TRAP_HANDLER: 0
; COMPUTE_PGM_RSRC2:TGID_X_EN: 1
; COMPUTE_PGM_RSRC2:TGID_Y_EN: 0
; COMPUTE_PGM_RSRC2:TGID_Z_EN: 0
; COMPUTE_PGM_RSRC2:TIDIG_COMP_CNT: 0
	.text
	.p2alignl 7, 3214868480
	.fill 96, 4, 3214868480
	.type	__hip_cuid_222f8b88e42c25c8,@object ; @__hip_cuid_222f8b88e42c25c8
	.section	.bss,"aw",@nobits
	.globl	__hip_cuid_222f8b88e42c25c8
__hip_cuid_222f8b88e42c25c8:
	.byte	0                               ; 0x0
	.size	__hip_cuid_222f8b88e42c25c8, 1

	.ident	"AMD clang version 19.0.0git (https://github.com/RadeonOpenCompute/llvm-project roc-6.4.0 25133 c7fe45cf4b819c5991fe208aaa96edf142730f1d)"
	.section	".note.GNU-stack","",@progbits
	.addrsig
	.addrsig_sym __hip_cuid_222f8b88e42c25c8
	.amdgpu_metadata
---
amdhsa.kernels:
  - .args:
      - .actual_access:  read_only
        .address_space:  global
        .offset:         0
        .size:           8
        .value_kind:     global_buffer
      - .actual_access:  read_only
        .address_space:  global
        .offset:         8
        .size:           8
        .value_kind:     global_buffer
      - .actual_access:  read_only
        .address_space:  global
        .offset:         16
        .size:           8
        .value_kind:     global_buffer
      - .actual_access:  read_only
        .address_space:  global
        .offset:         24
        .size:           8
        .value_kind:     global_buffer
      - .actual_access:  read_only
        .address_space:  global
        .offset:         32
        .size:           8
        .value_kind:     global_buffer
      - .offset:         40
        .size:           8
        .value_kind:     by_value
      - .address_space:  global
        .offset:         48
        .size:           8
        .value_kind:     global_buffer
      - .address_space:  global
        .offset:         56
        .size:           8
        .value_kind:     global_buffer
      - .address_space:  global
        .offset:         64
        .size:           8
        .value_kind:     global_buffer
      - .address_space:  global
        .offset:         72
        .size:           8
        .value_kind:     global_buffer
      - .offset:         80
        .size:           4
        .value_kind:     by_value
      - .address_space:  global
        .offset:         88
        .size:           8
        .value_kind:     global_buffer
      - .address_space:  global
        .offset:         96
        .size:           8
        .value_kind:     global_buffer
    .group_segment_fixed_size: 7056
    .kernarg_segment_align: 8
    .kernarg_segment_size: 104
    .language:       OpenCL C
    .language_version:
      - 2
      - 0
    .max_flat_workgroup_size: 126
    .name:           bluestein_single_fwd_len294_dim1_sp_op_CI_CI
    .private_segment_fixed_size: 0
    .sgpr_count:     18
    .sgpr_spill_count: 0
    .symbol:         bluestein_single_fwd_len294_dim1_sp_op_CI_CI.kd
    .uniform_work_group_size: 1
    .uses_dynamic_stack: false
    .vgpr_count:     90
    .vgpr_spill_count: 0
    .wavefront_size: 32
    .workgroup_processor_mode: 1
amdhsa.target:   amdgcn-amd-amdhsa--gfx1201
amdhsa.version:
  - 1
  - 2
...

	.end_amdgpu_metadata
